;; amdgpu-corpus repo=zjin-lcf/HeCBench kind=compiled arch=gfx906 opt=O3
	.amdgcn_target "amdgcn-amd-amdhsa--gfx906"
	.amdhsa_code_object_version 6
	.text
	.protected	_Z12bitonic_sortiiPi    ; -- Begin function _Z12bitonic_sortiiPi
	.globl	_Z12bitonic_sortiiPi
	.p2align	8
	.type	_Z12bitonic_sortiiPi,@function
_Z12bitonic_sortiiPi:                   ; @_Z12bitonic_sortiiPi
; %bb.0:
	s_load_dwordx2 s[2:3], s[4:5], 0x0
	s_load_dword s0, s[4:5], 0x1c
	s_waitcnt lgkmcnt(0)
	s_abs_i32 s1, s2
	v_cvt_f32_u32_e32 v1, s1
	s_sub_i32 s7, 0, s1
	s_and_b32 s0, s0, 0xffff
	s_mul_i32 s6, s6, s0
	v_rcp_iflag_f32_e32 v1, v1
	v_add_u32_e32 v0, s6, v0
	v_sub_u32_e32 v3, 0, v0
	v_max_i32_e32 v3, v0, v3
	v_mul_f32_e32 v1, 0x4f7ffffe, v1
	v_cvt_u32_f32_e32 v1, v1
	v_xor_b32_e32 v4, s2, v0
	v_ashrrev_i32_e32 v4, 31, v4
	s_lshr_b32 s0, s2, 31
	v_mul_lo_u32 v2, s7, v1
	s_add_i32 s0, s2, s0
	s_ashr_i32 s6, s0, 1
	v_mul_hi_u32 v2, v1, v2
	v_add_u32_e32 v1, v1, v2
	v_mul_hi_u32 v1, v3, v1
	v_mul_lo_u32 v2, v1, s1
	v_add_u32_e32 v5, 1, v1
	v_sub_u32_e32 v2, v3, v2
	v_cmp_le_u32_e32 vcc, s1, v2
	v_subrev_u32_e32 v3, s1, v2
	v_cndmask_b32_e32 v1, v1, v5, vcc
	v_cndmask_b32_e32 v2, v2, v3, vcc
	v_add_u32_e32 v3, 1, v1
	v_cmp_le_u32_e32 vcc, s1, v2
	v_cndmask_b32_e32 v1, v1, v3, vcc
	v_xor_b32_e32 v1, v1, v4
	v_sub_u32_e32 v4, v1, v4
	v_mul_lo_u32 v1, v4, s2
	v_add_u32_e32 v2, s6, v0
	v_cmp_ne_u32_e64 s[0:1], -1, v2
	v_add_u32_e32 v1, s6, v1
	v_cmp_lt_i32_e32 vcc, v0, v1
	s_and_b64 s[0:1], vcc, s[0:1]
	s_and_saveexec_b64 s[8:9], s[0:1]
	s_cbranch_execz .LBB0_3
; %bb.1:
	s_load_dwordx2 s[0:1], s[4:5], 0x8
	v_ashrrev_i32_e32 v1, 31, v0
	v_lshlrev_b64 v[0:1], 2, v[0:1]
	s_ashr_i32 s7, s6, 31
	v_sub_u32_e32 v9, 0, v4
	s_waitcnt lgkmcnt(0)
	v_mov_b32_e32 v2, s1
	v_add_co_u32_e32 v0, vcc, s0, v0
	v_addc_co_u32_e32 v1, vcc, v2, v1, vcc
	s_lshl_b64 s[0:1], s[6:7], 2
	v_mov_b32_e32 v3, s1
	v_add_co_u32_e32 v2, vcc, s0, v0
	v_addc_co_u32_e32 v3, vcc, v1, v3, vcc
	global_load_dword v5, v[0:1], off
	global_load_dword v6, v[2:3], off
	s_abs_i32 s0, s3
	v_cvt_f32_u32_e32 v7, s0
	s_sub_i32 s1, 0, s0
	v_max_i32_e32 v9, v4, v9
	v_xor_b32_e32 v4, s3, v4
	v_rcp_iflag_f32_e32 v7, v7
	v_ashrrev_i32_e32 v4, 31, v4
	v_mul_f32_e32 v7, 0x4f7ffffe, v7
	v_cvt_u32_f32_e32 v7, v7
	v_mul_lo_u32 v8, s1, v7
	v_mul_hi_u32 v8, v7, v8
	v_add_u32_e32 v7, v7, v8
	v_mul_hi_u32 v7, v9, v7
	v_mul_lo_u32 v8, v7, s0
	v_add_u32_e32 v10, 1, v7
	v_sub_u32_e32 v8, v9, v8
	v_cmp_le_u32_e32 vcc, s0, v8
	v_subrev_u32_e32 v9, s0, v8
	v_cndmask_b32_e32 v7, v7, v10, vcc
	v_cndmask_b32_e32 v8, v8, v9, vcc
	v_add_u32_e32 v9, 1, v7
	v_cmp_le_u32_e32 vcc, s0, v8
	v_cndmask_b32_e32 v7, v7, v9, vcc
	v_xor_b32_e32 v7, v7, v4
	v_sub_u32_e32 v4, v7, v4
	v_and_b32_e32 v4, 1, v4
	s_waitcnt vmcnt(0)
	v_cmp_le_i32_e32 vcc, v5, v6
	v_cndmask_b32_e64 v7, 0, 1, vcc
	v_cmp_ge_i32_e32 vcc, v5, v6
	v_cndmask_b32_e64 v8, 0, 1, vcc
	v_cmp_eq_u32_e32 vcc, 0, v4
	v_cndmask_b32_e32 v4, v8, v7, vcc
	v_and_b32_e32 v4, 1, v4
	v_cmp_eq_u32_e32 vcc, 1, v4
	s_xor_b64 s[0:1], vcc, -1
	s_and_b64 exec, exec, s[0:1]
	s_cbranch_execz .LBB0_3
; %bb.2:
	global_store_dword v[0:1], v6, off
	global_store_dword v[2:3], v5, off
.LBB0_3:
	s_endpgm
	.section	.rodata,"a",@progbits
	.p2align	6, 0x0
	.amdhsa_kernel _Z12bitonic_sortiiPi
		.amdhsa_group_segment_fixed_size 0
		.amdhsa_private_segment_fixed_size 0
		.amdhsa_kernarg_size 272
		.amdhsa_user_sgpr_count 6
		.amdhsa_user_sgpr_private_segment_buffer 1
		.amdhsa_user_sgpr_dispatch_ptr 0
		.amdhsa_user_sgpr_queue_ptr 0
		.amdhsa_user_sgpr_kernarg_segment_ptr 1
		.amdhsa_user_sgpr_dispatch_id 0
		.amdhsa_user_sgpr_flat_scratch_init 0
		.amdhsa_user_sgpr_private_segment_size 0
		.amdhsa_uses_dynamic_stack 0
		.amdhsa_system_sgpr_private_segment_wavefront_offset 0
		.amdhsa_system_sgpr_workgroup_id_x 1
		.amdhsa_system_sgpr_workgroup_id_y 0
		.amdhsa_system_sgpr_workgroup_id_z 0
		.amdhsa_system_sgpr_workgroup_info 0
		.amdhsa_system_vgpr_workitem_id 0
		.amdhsa_next_free_vgpr 11
		.amdhsa_next_free_sgpr 10
		.amdhsa_reserve_vcc 1
		.amdhsa_reserve_flat_scratch 0
		.amdhsa_float_round_mode_32 0
		.amdhsa_float_round_mode_16_64 0
		.amdhsa_float_denorm_mode_32 3
		.amdhsa_float_denorm_mode_16_64 3
		.amdhsa_dx10_clamp 1
		.amdhsa_ieee_mode 1
		.amdhsa_fp16_overflow 0
		.amdhsa_exception_fp_ieee_invalid_op 0
		.amdhsa_exception_fp_denorm_src 0
		.amdhsa_exception_fp_ieee_div_zero 0
		.amdhsa_exception_fp_ieee_overflow 0
		.amdhsa_exception_fp_ieee_underflow 0
		.amdhsa_exception_fp_ieee_inexact 0
		.amdhsa_exception_int_div_zero 0
	.end_amdhsa_kernel
	.text
.Lfunc_end0:
	.size	_Z12bitonic_sortiiPi, .Lfunc_end0-_Z12bitonic_sortiiPi
                                        ; -- End function
	.set _Z12bitonic_sortiiPi.num_vgpr, 11
	.set _Z12bitonic_sortiiPi.num_agpr, 0
	.set _Z12bitonic_sortiiPi.numbered_sgpr, 10
	.set _Z12bitonic_sortiiPi.num_named_barrier, 0
	.set _Z12bitonic_sortiiPi.private_seg_size, 0
	.set _Z12bitonic_sortiiPi.uses_vcc, 1
	.set _Z12bitonic_sortiiPi.uses_flat_scratch, 0
	.set _Z12bitonic_sortiiPi.has_dyn_sized_stack, 0
	.set _Z12bitonic_sortiiPi.has_recursion, 0
	.set _Z12bitonic_sortiiPi.has_indirect_call, 0
	.section	.AMDGPU.csdata,"",@progbits
; Kernel info:
; codeLenInByte = 488
; TotalNumSgprs: 14
; NumVgprs: 11
; ScratchSize: 0
; MemoryBound: 0
; FloatMode: 240
; IeeeMode: 1
; LDSByteSize: 0 bytes/workgroup (compile time only)
; SGPRBlocks: 1
; VGPRBlocks: 2
; NumSGPRsForWavesPerEU: 14
; NumVGPRsForWavesPerEU: 11
; Occupancy: 10
; WaveLimiterHint : 0
; COMPUTE_PGM_RSRC2:SCRATCH_EN: 0
; COMPUTE_PGM_RSRC2:USER_SGPR: 6
; COMPUTE_PGM_RSRC2:TRAP_HANDLER: 0
; COMPUTE_PGM_RSRC2:TGID_X_EN: 1
; COMPUTE_PGM_RSRC2:TGID_Y_EN: 0
; COMPUTE_PGM_RSRC2:TGID_Z_EN: 0
; COMPUTE_PGM_RSRC2:TIDIG_COMP_CNT: 0
	.section	.AMDGPU.gpr_maximums,"",@progbits
	.set amdgpu.max_num_vgpr, 0
	.set amdgpu.max_num_agpr, 0
	.set amdgpu.max_num_sgpr, 0
	.section	.AMDGPU.csdata,"",@progbits
	.type	__hip_cuid_3296db68125ae0e,@object ; @__hip_cuid_3296db68125ae0e
	.section	.bss,"aw",@nobits
	.globl	__hip_cuid_3296db68125ae0e
__hip_cuid_3296db68125ae0e:
	.byte	0                               ; 0x0
	.size	__hip_cuid_3296db68125ae0e, 1

	.ident	"AMD clang version 22.0.0git (https://github.com/RadeonOpenCompute/llvm-project roc-7.2.4 26084 f58b06dce1f9c15707c5f808fd002e18c2accf7e)"
	.section	".note.GNU-stack","",@progbits
	.addrsig
	.addrsig_sym __hip_cuid_3296db68125ae0e
	.amdgpu_metadata
---
amdhsa.kernels:
  - .args:
      - .offset:         0
        .size:           4
        .value_kind:     by_value
      - .offset:         4
        .size:           4
        .value_kind:     by_value
      - .address_space:  global
        .offset:         8
        .size:           8
        .value_kind:     global_buffer
      - .offset:         16
        .size:           4
        .value_kind:     hidden_block_count_x
      - .offset:         20
        .size:           4
        .value_kind:     hidden_block_count_y
      - .offset:         24
        .size:           4
        .value_kind:     hidden_block_count_z
      - .offset:         28
        .size:           2
        .value_kind:     hidden_group_size_x
      - .offset:         30
        .size:           2
        .value_kind:     hidden_group_size_y
      - .offset:         32
        .size:           2
        .value_kind:     hidden_group_size_z
      - .offset:         34
        .size:           2
        .value_kind:     hidden_remainder_x
      - .offset:         36
        .size:           2
        .value_kind:     hidden_remainder_y
      - .offset:         38
        .size:           2
        .value_kind:     hidden_remainder_z
      - .offset:         56
        .size:           8
        .value_kind:     hidden_global_offset_x
      - .offset:         64
        .size:           8
        .value_kind:     hidden_global_offset_y
      - .offset:         72
        .size:           8
        .value_kind:     hidden_global_offset_z
      - .offset:         80
        .size:           2
        .value_kind:     hidden_grid_dims
    .group_segment_fixed_size: 0
    .kernarg_segment_align: 8
    .kernarg_segment_size: 272
    .language:       OpenCL C
    .language_version:
      - 2
      - 0
    .max_flat_workgroup_size: 1024
    .name:           _Z12bitonic_sortiiPi
    .private_segment_fixed_size: 0
    .sgpr_count:     14
    .sgpr_spill_count: 0
    .symbol:         _Z12bitonic_sortiiPi.kd
    .uniform_work_group_size: 1
    .uses_dynamic_stack: false
    .vgpr_count:     11
    .vgpr_spill_count: 0
    .wavefront_size: 64
amdhsa.target:   amdgcn-amd-amdhsa--gfx906
amdhsa.version:
  - 1
  - 2
...

	.end_amdgpu_metadata
